;; amdgpu-corpus repo=ROCm/rocFFT kind=compiled arch=gfx906 opt=O3
	.text
	.amdgcn_target "amdgcn-amd-amdhsa--gfx906"
	.amdhsa_code_object_version 6
	.protected	fft_rtc_back_len462_factors_11_6_7_wgs_231_tpt_77_half_ip_CI_unitstride_sbrr_C2R_dirReg ; -- Begin function fft_rtc_back_len462_factors_11_6_7_wgs_231_tpt_77_half_ip_CI_unitstride_sbrr_C2R_dirReg
	.globl	fft_rtc_back_len462_factors_11_6_7_wgs_231_tpt_77_half_ip_CI_unitstride_sbrr_C2R_dirReg
	.p2align	8
	.type	fft_rtc_back_len462_factors_11_6_7_wgs_231_tpt_77_half_ip_CI_unitstride_sbrr_C2R_dirReg,@function
fft_rtc_back_len462_factors_11_6_7_wgs_231_tpt_77_half_ip_CI_unitstride_sbrr_C2R_dirReg: ; @fft_rtc_back_len462_factors_11_6_7_wgs_231_tpt_77_half_ip_CI_unitstride_sbrr_C2R_dirReg
; %bb.0:
	s_load_dwordx2 s[2:3], s[4:5], 0x50
	s_load_dwordx4 s[8:11], s[4:5], 0x0
	s_load_dwordx2 s[12:13], s[4:5], 0x18
	v_mul_u32_u24_e32 v1, 0x354, v0
	v_lshrrev_b32_e32 v1, 16, v1
	v_mad_u64_u32 v[1:2], s[0:1], s6, 3, v[1:2]
	v_mov_b32_e32 v5, 0
	s_waitcnt lgkmcnt(0)
	v_cmp_lt_u64_e64 s[0:1], s[10:11], 2
	v_mov_b32_e32 v2, v5
	v_mov_b32_e32 v3, 0
	;; [unrolled: 1-line block ×3, first 2 shown]
	s_and_b64 vcc, exec, s[0:1]
	v_mov_b32_e32 v4, 0
	v_mov_b32_e32 v9, v1
	s_cbranch_vccnz .LBB0_8
; %bb.1:
	s_load_dwordx2 s[0:1], s[4:5], 0x10
	s_add_u32 s6, s12, 8
	s_addc_u32 s7, s13, 0
	v_mov_b32_e32 v3, 0
	v_mov_b32_e32 v8, v2
	s_waitcnt lgkmcnt(0)
	s_add_u32 s16, s0, 8
	s_mov_b64 s[14:15], 1
	v_mov_b32_e32 v4, 0
	s_addc_u32 s17, s1, 0
	v_mov_b32_e32 v7, v1
.LBB0_2:                                ; =>This Inner Loop Header: Depth=1
	s_load_dwordx2 s[18:19], s[16:17], 0x0
                                        ; implicit-def: $vgpr9_vgpr10
	s_waitcnt lgkmcnt(0)
	v_or_b32_e32 v6, s19, v8
	v_cmp_ne_u64_e32 vcc, 0, v[5:6]
	s_and_saveexec_b64 s[0:1], vcc
	s_xor_b64 s[20:21], exec, s[0:1]
	s_cbranch_execz .LBB0_4
; %bb.3:                                ;   in Loop: Header=BB0_2 Depth=1
	v_cvt_f32_u32_e32 v2, s18
	v_cvt_f32_u32_e32 v6, s19
	s_sub_u32 s0, 0, s18
	s_subb_u32 s1, 0, s19
	v_mac_f32_e32 v2, 0x4f800000, v6
	v_rcp_f32_e32 v2, v2
	v_mul_f32_e32 v2, 0x5f7ffffc, v2
	v_mul_f32_e32 v6, 0x2f800000, v2
	v_trunc_f32_e32 v6, v6
	v_mac_f32_e32 v2, 0xcf800000, v6
	v_cvt_u32_f32_e32 v6, v6
	v_cvt_u32_f32_e32 v2, v2
	v_mul_lo_u32 v9, s0, v6
	v_mul_hi_u32 v10, s0, v2
	v_mul_lo_u32 v12, s1, v2
	v_mul_lo_u32 v11, s0, v2
	v_add_u32_e32 v9, v10, v9
	v_add_u32_e32 v9, v9, v12
	v_mul_hi_u32 v10, v2, v11
	v_mul_lo_u32 v12, v2, v9
	v_mul_hi_u32 v14, v2, v9
	v_mul_hi_u32 v13, v6, v11
	v_mul_lo_u32 v11, v6, v11
	v_mul_hi_u32 v15, v6, v9
	v_add_co_u32_e32 v10, vcc, v10, v12
	v_addc_co_u32_e32 v12, vcc, 0, v14, vcc
	v_mul_lo_u32 v9, v6, v9
	v_add_co_u32_e32 v10, vcc, v10, v11
	v_addc_co_u32_e32 v10, vcc, v12, v13, vcc
	v_addc_co_u32_e32 v11, vcc, 0, v15, vcc
	v_add_co_u32_e32 v9, vcc, v10, v9
	v_addc_co_u32_e32 v10, vcc, 0, v11, vcc
	v_add_co_u32_e32 v2, vcc, v2, v9
	v_addc_co_u32_e32 v6, vcc, v6, v10, vcc
	v_mul_lo_u32 v9, s0, v6
	v_mul_hi_u32 v10, s0, v2
	v_mul_lo_u32 v11, s1, v2
	v_mul_lo_u32 v12, s0, v2
	v_add_u32_e32 v9, v10, v9
	v_add_u32_e32 v9, v9, v11
	v_mul_lo_u32 v13, v2, v9
	v_mul_hi_u32 v14, v2, v12
	v_mul_hi_u32 v15, v2, v9
	;; [unrolled: 1-line block ×3, first 2 shown]
	v_mul_lo_u32 v12, v6, v12
	v_mul_hi_u32 v10, v6, v9
	v_add_co_u32_e32 v13, vcc, v14, v13
	v_addc_co_u32_e32 v14, vcc, 0, v15, vcc
	v_mul_lo_u32 v9, v6, v9
	v_add_co_u32_e32 v12, vcc, v13, v12
	v_addc_co_u32_e32 v11, vcc, v14, v11, vcc
	v_addc_co_u32_e32 v10, vcc, 0, v10, vcc
	v_add_co_u32_e32 v9, vcc, v11, v9
	v_addc_co_u32_e32 v10, vcc, 0, v10, vcc
	v_add_co_u32_e32 v2, vcc, v2, v9
	v_addc_co_u32_e32 v6, vcc, v6, v10, vcc
	v_mad_u64_u32 v[9:10], s[0:1], v7, v6, 0
	v_mul_hi_u32 v11, v7, v2
	v_add_co_u32_e32 v13, vcc, v11, v9
	v_addc_co_u32_e32 v14, vcc, 0, v10, vcc
	v_mad_u64_u32 v[9:10], s[0:1], v8, v2, 0
	v_mad_u64_u32 v[11:12], s[0:1], v8, v6, 0
	v_add_co_u32_e32 v2, vcc, v13, v9
	v_addc_co_u32_e32 v2, vcc, v14, v10, vcc
	v_addc_co_u32_e32 v6, vcc, 0, v12, vcc
	v_add_co_u32_e32 v2, vcc, v2, v11
	v_addc_co_u32_e32 v6, vcc, 0, v6, vcc
	v_mul_lo_u32 v11, s19, v2
	v_mul_lo_u32 v12, s18, v6
	v_mad_u64_u32 v[9:10], s[0:1], s18, v2, 0
	v_add3_u32 v10, v10, v12, v11
	v_sub_u32_e32 v11, v8, v10
	v_mov_b32_e32 v12, s19
	v_sub_co_u32_e32 v9, vcc, v7, v9
	v_subb_co_u32_e64 v11, s[0:1], v11, v12, vcc
	v_subrev_co_u32_e64 v12, s[0:1], s18, v9
	v_subbrev_co_u32_e64 v11, s[0:1], 0, v11, s[0:1]
	v_cmp_le_u32_e64 s[0:1], s19, v11
	v_cndmask_b32_e64 v13, 0, -1, s[0:1]
	v_cmp_le_u32_e64 s[0:1], s18, v12
	v_cndmask_b32_e64 v12, 0, -1, s[0:1]
	v_cmp_eq_u32_e64 s[0:1], s19, v11
	v_cndmask_b32_e64 v11, v13, v12, s[0:1]
	v_add_co_u32_e64 v12, s[0:1], 2, v2
	v_addc_co_u32_e64 v13, s[0:1], 0, v6, s[0:1]
	v_add_co_u32_e64 v14, s[0:1], 1, v2
	v_addc_co_u32_e64 v15, s[0:1], 0, v6, s[0:1]
	v_subb_co_u32_e32 v10, vcc, v8, v10, vcc
	v_cmp_ne_u32_e64 s[0:1], 0, v11
	v_cmp_le_u32_e32 vcc, s19, v10
	v_cndmask_b32_e64 v11, v15, v13, s[0:1]
	v_cndmask_b32_e64 v13, 0, -1, vcc
	v_cmp_le_u32_e32 vcc, s18, v9
	v_cndmask_b32_e64 v9, 0, -1, vcc
	v_cmp_eq_u32_e32 vcc, s19, v10
	v_cndmask_b32_e32 v9, v13, v9, vcc
	v_cmp_ne_u32_e32 vcc, 0, v9
	v_cndmask_b32_e32 v10, v6, v11, vcc
	v_cndmask_b32_e64 v6, v14, v12, s[0:1]
	v_cndmask_b32_e32 v9, v2, v6, vcc
.LBB0_4:                                ;   in Loop: Header=BB0_2 Depth=1
	s_andn2_saveexec_b64 s[0:1], s[20:21]
	s_cbranch_execz .LBB0_6
; %bb.5:                                ;   in Loop: Header=BB0_2 Depth=1
	v_cvt_f32_u32_e32 v2, s18
	s_sub_i32 s20, 0, s18
	v_rcp_iflag_f32_e32 v2, v2
	v_mul_f32_e32 v2, 0x4f7ffffe, v2
	v_cvt_u32_f32_e32 v2, v2
	v_mul_lo_u32 v6, s20, v2
	v_mul_hi_u32 v6, v2, v6
	v_add_u32_e32 v2, v2, v6
	v_mul_hi_u32 v2, v7, v2
	v_mul_lo_u32 v6, v2, s18
	v_add_u32_e32 v9, 1, v2
	v_sub_u32_e32 v6, v7, v6
	v_subrev_u32_e32 v10, s18, v6
	v_cmp_le_u32_e32 vcc, s18, v6
	v_cndmask_b32_e32 v6, v6, v10, vcc
	v_cndmask_b32_e32 v2, v2, v9, vcc
	v_add_u32_e32 v9, 1, v2
	v_cmp_le_u32_e32 vcc, s18, v6
	v_cndmask_b32_e32 v9, v2, v9, vcc
	v_mov_b32_e32 v10, v5
.LBB0_6:                                ;   in Loop: Header=BB0_2 Depth=1
	s_or_b64 exec, exec, s[0:1]
	v_mul_lo_u32 v2, v10, s18
	v_mul_lo_u32 v6, v9, s19
	v_mad_u64_u32 v[11:12], s[0:1], v9, s18, 0
	s_load_dwordx2 s[0:1], s[6:7], 0x0
	s_add_u32 s14, s14, 1
	v_add3_u32 v2, v12, v6, v2
	v_sub_co_u32_e32 v6, vcc, v7, v11
	v_subb_co_u32_e32 v2, vcc, v8, v2, vcc
	s_waitcnt lgkmcnt(0)
	v_mul_lo_u32 v2, s0, v2
	v_mul_lo_u32 v7, s1, v6
	v_mad_u64_u32 v[3:4], s[0:1], s0, v6, v[3:4]
	s_addc_u32 s15, s15, 0
	s_add_u32 s6, s6, 8
	v_add3_u32 v4, v7, v4, v2
	v_mov_b32_e32 v6, s10
	v_mov_b32_e32 v7, s11
	s_addc_u32 s7, s7, 0
	v_cmp_ge_u64_e32 vcc, s[14:15], v[6:7]
	s_add_u32 s16, s16, 8
	s_addc_u32 s17, s17, 0
	s_cbranch_vccnz .LBB0_8
; %bb.7:                                ;   in Loop: Header=BB0_2 Depth=1
	v_mov_b32_e32 v7, v9
	v_mov_b32_e32 v8, v10
	s_branch .LBB0_2
.LBB0_8:
	s_lshl_b64 s[0:1], s[10:11], 3
	s_add_u32 s0, s12, s0
	s_addc_u32 s1, s13, s1
	s_load_dwordx2 s[0:1], s[0:1], 0x0
	s_mov_b32 s6, 0xaaaaaaab
	v_mul_hi_u32 v5, v1, s6
	s_waitcnt lgkmcnt(0)
	v_mul_lo_u32 v6, s0, v10
	v_mul_lo_u32 v7, s1, v9
	v_mad_u64_u32 v[2:3], s[0:1], s0, v9, v[3:4]
	s_load_dwordx2 s[0:1], s[4:5], 0x20
	s_mov_b32 s4, 0x3531ded
	v_lshrrev_b32_e32 v4, 1, v5
	v_mul_hi_u32 v5, v0, s4
	v_lshl_add_u32 v4, v4, 1, v4
	v_add3_u32 v3, v7, v3, v6
	v_sub_u32_e32 v1, v1, v4
	v_mul_u32_u24_e32 v6, 0x1cf, v1
	s_waitcnt lgkmcnt(0)
	v_cmp_gt_u64_e32 vcc, s[0:1], v[9:10]
	v_mul_u32_u24_e32 v1, 0x4d, v5
	v_lshlrev_b64 v[2:3], 2, v[2:3]
	v_sub_u32_e32 v0, v0, v1
	v_lshlrev_b32_e32 v18, 2, v6
	s_and_saveexec_b64 s[4:5], vcc
	s_cbranch_execz .LBB0_12
; %bb.9:
	v_mov_b32_e32 v1, 0
	v_mov_b32_e32 v5, s3
	v_add_co_u32_e64 v4, s[0:1], s2, v2
	v_lshlrev_b64 v[7:8], 2, v[0:1]
	v_addc_co_u32_e64 v5, s[0:1], v5, v3, s[0:1]
	v_add_co_u32_e64 v7, s[0:1], v4, v7
	v_addc_co_u32_e64 v8, s[0:1], v5, v8, s[0:1]
	global_load_dword v9, v[7:8], off
	global_load_dword v10, v[7:8], off offset:308
	global_load_dword v11, v[7:8], off offset:616
	;; [unrolled: 1-line block ×5, first 2 shown]
	v_lshlrev_b32_e32 v1, 2, v0
	s_movk_i32 s0, 0x4c
	v_add3_u32 v1, 0, v18, v1
	v_cmp_eq_u32_e64 s[0:1], s0, v0
	v_add_u32_e32 v7, 0x400, v1
	s_waitcnt vmcnt(4)
	ds_write2_b32 v1, v9, v10 offset1:77
	s_waitcnt vmcnt(2)
	ds_write2_b32 v1, v11, v12 offset0:154 offset1:231
	s_waitcnt vmcnt(0)
	ds_write2_b32 v7, v13, v14 offset0:52 offset1:129
	s_and_saveexec_b64 s[6:7], s[0:1]
	s_cbranch_execz .LBB0_11
; %bb.10:
	global_load_dword v0, v[4:5], off offset:1848
	s_waitcnt vmcnt(0)
	ds_write_b32 v1, v0 offset:1544
	v_mov_b32_e32 v0, 0x4c
.LBB0_11:
	s_or_b64 exec, exec, s[6:7]
.LBB0_12:
	s_or_b64 exec, exec, s[4:5]
	v_lshl_add_u32 v16, v6, 2, 0
	v_lshlrev_b32_e32 v1, 2, v0
	v_add_u32_e32 v17, v16, v1
	s_waitcnt lgkmcnt(0)
	s_barrier
	v_sub_u32_e32 v7, v16, v1
	ds_read_u16 v10, v17
	ds_read_u16 v11, v7 offset:1848
	v_cmp_ne_u32_e64 s[0:1], 0, v0
                                        ; implicit-def: $vgpr4_vgpr5
	s_waitcnt lgkmcnt(0)
	v_add_f16_e32 v8, v11, v10
	v_sub_f16_e32 v9, v10, v11
	s_and_saveexec_b64 s[4:5], s[0:1]
	s_xor_b64 s[4:5], exec, s[4:5]
	s_cbranch_execz .LBB0_14
; %bb.13:
	v_mov_b32_e32 v1, 0
	v_lshlrev_b64 v[4:5], 2, v[0:1]
	v_mov_b32_e32 v8, s9
	v_add_co_u32_e64 v4, s[0:1], s8, v4
	v_addc_co_u32_e64 v5, s[0:1], v8, v5, s[0:1]
	global_load_dword v4, v[4:5], off offset:1804
	ds_read_u16 v5, v7 offset:1850
	ds_read_u16 v8, v17 offset:2
	v_add_f16_e32 v9, v11, v10
	v_sub_f16_e32 v10, v10, v11
	s_waitcnt lgkmcnt(0)
	v_add_f16_e32 v11, v5, v8
	v_sub_f16_e32 v5, v8, v5
	s_waitcnt vmcnt(0)
	v_lshrrev_b32_e32 v8, 16, v4
	v_fma_f16 v12, v10, v8, v9
	v_fma_f16 v13, v11, v8, v5
	v_fma_f16 v14, -v10, v8, v9
	v_fma_f16 v5, v11, v8, -v5
	v_fma_f16 v8, -v4, v11, v12
	v_fma_f16 v9, v10, v4, v13
	v_fma_f16 v11, v4, v11, v14
	v_fma_f16 v4, v10, v4, v5
	v_pack_b32_f16 v4, v11, v4
	ds_write_b32 v7, v4 offset:1848
	v_mov_b32_e32 v5, v1
	v_mov_b32_e32 v4, v0
.LBB0_14:
	s_andn2_saveexec_b64 s[0:1], s[4:5]
	s_cbranch_execz .LBB0_16
; %bb.15:
	ds_read_b32 v1, v16 offset:924
	s_mov_b32 s4, 0xc0004000
	v_mov_b32_e32 v4, 0
	v_mov_b32_e32 v5, 0
	s_waitcnt lgkmcnt(0)
	v_pk_mul_f16 v1, v1, s4
	ds_write_b32 v16, v1 offset:924
.LBB0_16:
	s_or_b64 exec, exec, s[0:1]
	s_add_u32 s0, s8, 0x70c
	v_lshlrev_b64 v[4:5], 2, v[4:5]
	s_addc_u32 s1, s9, 0
	v_mov_b32_e32 v1, s1
	v_add_co_u32_e64 v4, s[0:1], s0, v4
	v_addc_co_u32_e64 v5, s[0:1], v1, v5, s[0:1]
	global_load_dword v1, v[4:5], off offset:308
	global_load_dword v10, v[4:5], off offset:616
	s_mov_b32 s6, 0x5040100
	v_perm_b32 v5, v9, v8, s6
	ds_write_b32 v17, v5
	ds_read_b32 v5, v17 offset:308
	ds_read_b32 v8, v7 offset:1540
	v_lshl_add_u32 v4, v0, 2, 0
	s_mov_b32 s12, 0xb482
	s_mov_b32 s7, 0xbbad
	s_movk_i32 s15, 0x3853
	s_waitcnt lgkmcnt(0)
	v_add_f16_e32 v9, v5, v8
	v_add_f16_sdwa v11, v8, v5 dst_sel:DWORD dst_unused:UNUSED_PAD src0_sel:WORD_1 src1_sel:WORD_1
	v_sub_f16_e32 v12, v5, v8
	v_sub_f16_sdwa v5, v5, v8 dst_sel:DWORD dst_unused:UNUSED_PAD src0_sel:WORD_1 src1_sel:WORD_1
	s_movk_i32 s11, 0x3abb
	s_mov_b32 s14, 0xba0c
	s_mov_b32 s10, 0xb93d
	s_movk_i32 s18, 0x3b47
	s_movk_i32 s13, 0x36a6
	s_mov_b32 s16, 0xbbeb
	s_mov_b32 s17, 0xb08e
	v_cmp_gt_u32_e64 s[0:1], 42, v0
	s_waitcnt vmcnt(1)
	v_lshrrev_b32_e32 v8, 16, v1
	v_fma_f16 v13, v12, v8, v9
	v_fma_f16 v14, v11, v8, v5
	v_fma_f16 v9, -v12, v8, v9
	v_fma_f16 v5, v11, v8, -v5
	v_fma_f16 v8, -v1, v11, v13
	v_fma_f16 v13, v12, v1, v14
	v_fma_f16 v9, v1, v11, v9
	;; [unrolled: 1-line block ×3, first 2 shown]
	v_pack_b32_f16 v5, v8, v13
	v_pack_b32_f16 v1, v9, v1
	ds_write_b32 v17, v5 offset:308
	ds_write_b32 v7, v1 offset:1540
	ds_read_b32 v5, v17 offset:616
	ds_read_b32 v8, v7 offset:1232
	v_lshl_add_u32 v1, v6, 2, v4
	s_waitcnt vmcnt(0)
	v_lshrrev_b32_e32 v6, 16, v10
	v_add_u32_e32 v9, 0x400, v1
	s_waitcnt lgkmcnt(0)
	v_add_f16_e32 v11, v5, v8
	v_add_f16_sdwa v12, v8, v5 dst_sel:DWORD dst_unused:UNUSED_PAD src0_sel:WORD_1 src1_sel:WORD_1
	v_sub_f16_e32 v13, v5, v8
	v_sub_f16_sdwa v5, v5, v8 dst_sel:DWORD dst_unused:UNUSED_PAD src0_sel:WORD_1 src1_sel:WORD_1
	v_fma_f16 v8, v13, v6, v11
	v_fma_f16 v14, v12, v6, v5
	v_fma_f16 v11, -v13, v6, v11
	v_fma_f16 v5, v12, v6, -v5
	v_fma_f16 v6, -v10, v12, v8
	v_fma_f16 v8, v13, v10, v14
	v_fma_f16 v11, v10, v12, v11
	;; [unrolled: 1-line block ×3, first 2 shown]
	v_pack_b32_f16 v6, v6, v8
	v_pack_b32_f16 v5, v11, v5
	ds_write_b32 v17, v6 offset:616
	ds_write_b32 v7, v5 offset:1232
	s_waitcnt lgkmcnt(0)
	s_barrier
	s_barrier
	ds_read_b32 v20, v17
	ds_read2_b32 v[14:15], v1 offset0:42 offset1:84
	ds_read2_b32 v[6:7], v9 offset0:122 offset1:164
	;; [unrolled: 1-line block ×5, first 2 shown]
	s_waitcnt lgkmcnt(0)
	v_pk_add_f16 v26, v14, v7 neg_lo:[0,1] neg_hi:[0,1]
	v_pk_add_f16 v21, v7, v14
	v_pk_add_f16 v27, v15, v6 neg_lo:[0,1] neg_hi:[0,1]
	v_pk_mul_f16 v5, v26, s12 op_sel_hi:[1,0]
	v_pk_add_f16 v22, v6, v15
	v_pk_add_f16 v28, v12, v9 neg_lo:[0,1] neg_hi:[0,1]
	v_pk_mul_f16 v19, v27, s15 op_sel_hi:[1,0]
	v_pk_fma_f16 v31, v21, s7, v5 op_sel:[0,0,1] op_sel_hi:[1,0,0] neg_lo:[0,0,1] neg_hi:[0,0,1]
	v_pk_fma_f16 v32, v21, s7, v5 op_sel:[0,0,1] op_sel_hi:[1,0,0]
	v_pk_add_f16 v23, v9, v12
	v_pk_add_f16 v29, v13, v8 neg_lo:[0,1] neg_hi:[0,1]
	v_pk_mul_f16 v36, v28, s14 op_sel_hi:[1,0]
	v_pk_fma_f16 v33, v22, s11, v19 op_sel:[0,0,1] op_sel_hi:[1,0,0] neg_lo:[0,0,1] neg_hi:[0,0,1]
	v_pk_fma_f16 v34, v22, s11, v19 op_sel:[0,0,1] op_sel_hi:[1,0,0]
	v_add_f16_e32 v5, v20, v31
	v_add_f16_sdwa v19, v20, v32 dst_sel:DWORD dst_unused:UNUSED_PAD src0_sel:WORD_1 src1_sel:WORD_1
	v_pk_add_f16 v24, v8, v13
	v_pk_add_f16 v30, v10, v11 neg_lo:[0,1] neg_hi:[0,1]
	v_pk_mul_f16 v38, v29, s18 op_sel_hi:[1,0]
	v_pk_fma_f16 v35, v23, s10, v36 op_sel:[0,0,1] op_sel_hi:[1,0,0] neg_lo:[0,0,1] neg_hi:[0,0,1]
	v_pk_fma_f16 v36, v23, s10, v36 op_sel:[0,0,1] op_sel_hi:[1,0,0]
	v_add_f16_e32 v5, v33, v5
	v_add_f16_sdwa v19, v34, v19 dst_sel:DWORD dst_unused:UNUSED_PAD src0_sel:WORD_1 src1_sel:DWORD
	v_pk_add_f16 v25, v11, v10
	v_pk_mul_f16 v40, v30, s16 op_sel_hi:[1,0]
	v_pk_fma_f16 v37, v24, s13, v38 op_sel:[0,0,1] op_sel_hi:[1,0,0] neg_lo:[0,0,1] neg_hi:[0,0,1]
	v_pk_fma_f16 v38, v24, s13, v38 op_sel:[0,0,1] op_sel_hi:[1,0,0]
	v_add_f16_e32 v5, v35, v5
	v_add_f16_sdwa v19, v36, v19 dst_sel:DWORD dst_unused:UNUSED_PAD src0_sel:WORD_1 src1_sel:DWORD
	v_pk_fma_f16 v39, v25, s17, v40 op_sel:[0,0,1] op_sel_hi:[1,0,0] neg_lo:[0,0,1] neg_hi:[0,0,1]
	v_pk_fma_f16 v40, v25, s17, v40 op_sel:[0,0,1] op_sel_hi:[1,0,0]
	v_add_f16_e32 v5, v37, v5
	v_add_f16_sdwa v19, v38, v19 dst_sel:DWORD dst_unused:UNUSED_PAD src0_sel:WORD_1 src1_sel:DWORD
	v_add_f16_sdwa v19, v40, v19 dst_sel:DWORD dst_unused:UNUSED_PAD src0_sel:WORD_1 src1_sel:DWORD
	v_add_f16_e32 v5, v39, v5
	s_barrier
	s_and_saveexec_b64 s[4:5], s[0:1]
	s_cbranch_execz .LBB0_18
; %bb.17:
	s_mov_b32 s0, 0xffff
	v_bfi_b32 v31, s0, v32, v31
	v_bfi_b32 v32, s0, v34, v33
	;; [unrolled: 1-line block ×3, first 2 shown]
	v_mul_f16_sdwa v36, v21, s10 dst_sel:DWORD dst_unused:UNUSED_PAD src0_sel:WORD_1 src1_sel:DWORD
	s_movk_i32 s22, 0x3a0c
	v_bfi_b32 v34, s0, v38, v37
	v_fma_f16 v37, v26, s22, v36
	v_mul_f16_sdwa v38, v22, s17 dst_sel:DWORD dst_unused:UNUSED_PAD src0_sel:WORD_1 src1_sel:DWORD
	v_bfi_b32 v35, s0, v40, v39
	v_add_f16_sdwa v37, v20, v37 dst_sel:DWORD dst_unused:UNUSED_PAD src0_sel:WORD_1 src1_sel:DWORD
	v_fma_f16 v39, v27, s16, v38
	v_add_f16_e32 v37, v39, v37
	v_mul_f16_sdwa v39, v23, s11 dst_sel:DWORD dst_unused:UNUSED_PAD src0_sel:WORD_1 src1_sel:DWORD
	v_fma_f16 v40, v28, s15, v39
	v_add_f16_e32 v37, v40, v37
	v_mul_f16_sdwa v40, v24, s7 dst_sel:DWORD dst_unused:UNUSED_PAD src0_sel:WORD_1 src1_sel:DWORD
	s_movk_i32 s20, 0x3482
	v_fma_f16 v41, v29, s20, v40
	v_add_f16_e32 v37, v41, v37
	v_mul_f16_sdwa v41, v25, s13 dst_sel:DWORD dst_unused:UNUSED_PAD src0_sel:WORD_1 src1_sel:DWORD
	s_mov_b32 s1, 0xbb47
	v_fma_f16 v42, v30, s1, v41
	v_add_f16_e32 v37, v42, v37
	v_mul_f16_sdwa v42, v26, s14 dst_sel:DWORD dst_unused:UNUSED_PAD src0_sel:WORD_1 src1_sel:DWORD
	s_movk_i32 s21, 0x3beb
	v_fma_f16 v43, v21, s10, v42
	v_mul_f16_sdwa v44, v27, s21 dst_sel:DWORD dst_unused:UNUSED_PAD src0_sel:WORD_1 src1_sel:DWORD
	v_add_f16_e32 v43, v20, v43
	v_fma_f16 v45, v22, s17, v44
	s_mov_b32 s19, 0xb853
	v_add_f16_e32 v43, v45, v43
	v_mul_f16_sdwa v45, v28, s19 dst_sel:DWORD dst_unused:UNUSED_PAD src0_sel:WORD_1 src1_sel:DWORD
	v_pk_add_f16 v14, v20, v14
	v_fma_f16 v46, v23, s11, v45
	v_pk_add_f16 v14, v14, v15
	v_mul_f16_sdwa v15, v29, s12 dst_sel:DWORD dst_unused:UNUSED_PAD src0_sel:WORD_1 src1_sel:DWORD
	v_add_f16_e32 v43, v46, v43
	v_fma_f16 v46, v24, s7, v15
	v_add_f16_e32 v43, v46, v43
	v_mul_f16_sdwa v46, v30, s18 dst_sel:DWORD dst_unused:UNUSED_PAD src0_sel:WORD_1 src1_sel:DWORD
	v_fma_f16 v47, v25, s13, v46
	v_add_f16_e32 v43, v47, v43
	v_mul_f16_sdwa v47, v21, s17 dst_sel:DWORD dst_unused:UNUSED_PAD src0_sel:WORD_1 src1_sel:DWORD
	v_fma_f16 v48, v26, s21, v47
	v_mul_f16_sdwa v49, v22, s7 dst_sel:DWORD dst_unused:UNUSED_PAD src0_sel:WORD_1 src1_sel:DWORD
	v_add_f16_sdwa v48, v20, v48 dst_sel:DWORD dst_unused:UNUSED_PAD src0_sel:WORD_1 src1_sel:DWORD
	v_fma_f16 v50, v27, s12, v49
	v_add_f16_e32 v48, v50, v48
	v_mul_f16_sdwa v50, v23, s13 dst_sel:DWORD dst_unused:UNUSED_PAD src0_sel:WORD_1 src1_sel:DWORD
	v_fma_f16 v51, v28, s1, v50
	v_add_f16_e32 v48, v51, v48
	v_mul_f16_sdwa v51, v24, s11 dst_sel:DWORD dst_unused:UNUSED_PAD src0_sel:WORD_1 src1_sel:DWORD
	v_fma_f16 v52, v29, s15, v51
	v_fma_f16 v36, v26, s14, v36
	v_add_f16_e32 v48, v52, v48
	v_mul_f16_sdwa v52, v25, s10 dst_sel:DWORD dst_unused:UNUSED_PAD src0_sel:WORD_1 src1_sel:DWORD
	v_add_f16_sdwa v36, v20, v36 dst_sel:DWORD dst_unused:UNUSED_PAD src0_sel:WORD_1 src1_sel:DWORD
	v_fma_f16 v38, v27, s21, v38
	v_fma_f16 v53, v30, s22, v52
	v_add_f16_e32 v36, v38, v36
	v_fma_f16 v38, v28, s19, v39
	v_add_f16_e32 v48, v53, v48
	v_mul_f16_sdwa v53, v26, s16 dst_sel:DWORD dst_unused:UNUSED_PAD src0_sel:WORD_1 src1_sel:DWORD
	v_add_f16_e32 v36, v38, v36
	v_fma_f16 v38, v29, s12, v40
	v_fma_f16 v54, v21, s17, v53
	v_mul_f16_sdwa v55, v27, s20 dst_sel:DWORD dst_unused:UNUSED_PAD src0_sel:WORD_1 src1_sel:DWORD
	v_add_f16_e32 v36, v38, v36
	v_fma_f16 v38, v30, s18, v41
	v_add_f16_e32 v54, v20, v54
	v_fma_f16 v56, v22, s7, v55
	v_add_f16_e32 v36, v38, v36
	v_fma_f16 v38, v21, s10, -v42
	v_add_f16_e32 v54, v56, v54
	v_mul_f16_sdwa v56, v28, s18 dst_sel:DWORD dst_unused:UNUSED_PAD src0_sel:WORD_1 src1_sel:DWORD
	v_add_f16_e32 v38, v20, v38
	v_fma_f16 v39, v22, s17, -v44
	v_fma_f16 v57, v23, s13, v56
	v_add_f16_e32 v38, v39, v38
	v_fma_f16 v39, v23, s11, -v45
	v_add_f16_e32 v54, v57, v54
	v_mul_f16_sdwa v57, v29, s19 dst_sel:DWORD dst_unused:UNUSED_PAD src0_sel:WORD_1 src1_sel:DWORD
	v_add_f16_e32 v38, v39, v38
	v_fma_f16 v15, v24, s7, -v15
	v_fma_f16 v58, v24, s11, v57
	v_add_f16_e32 v15, v15, v38
	v_fma_f16 v38, v25, s13, -v46
	v_add_f16_e32 v54, v58, v54
	v_mul_f16_sdwa v58, v30, s14 dst_sel:DWORD dst_unused:UNUSED_PAD src0_sel:WORD_1 src1_sel:DWORD
	v_add_f16_e32 v15, v38, v15
	v_fma_f16 v38, v26, s16, v47
	v_fma_f16 v59, v25, s10, v58
	v_add_f16_sdwa v38, v20, v38 dst_sel:DWORD dst_unused:UNUSED_PAD src0_sel:WORD_1 src1_sel:DWORD
	v_fma_f16 v39, v27, s20, v49
	v_add_f16_e32 v54, v59, v54
	v_mul_f16_sdwa v59, v21, s13 dst_sel:DWORD dst_unused:UNUSED_PAD src0_sel:WORD_1 src1_sel:DWORD
	v_add_f16_e32 v38, v39, v38
	v_fma_f16 v39, v28, s18, v50
	v_fma_f16 v60, v26, s18, v59
	v_mul_f16_sdwa v61, v22, s10 dst_sel:DWORD dst_unused:UNUSED_PAD src0_sel:WORD_1 src1_sel:DWORD
	v_add_f16_e32 v38, v39, v38
	v_fma_f16 v39, v29, s19, v51
	v_add_f16_sdwa v60, v20, v60 dst_sel:DWORD dst_unused:UNUSED_PAD src0_sel:WORD_1 src1_sel:DWORD
	v_fma_f16 v62, v27, s22, v61
	v_add_f16_e32 v38, v39, v38
	v_fma_f16 v39, v30, s14, v52
	v_add_f16_e32 v60, v62, v60
	v_mul_f16_sdwa v62, v23, s7 dst_sel:DWORD dst_unused:UNUSED_PAD src0_sel:WORD_1 src1_sel:DWORD
	v_add_f16_e32 v38, v39, v38
	v_fma_f16 v39, v21, s17, -v53
	v_pk_add_f16 v12, v14, v12
	v_fma_f16 v63, v28, s12, v62
	v_add_f16_e32 v39, v20, v39
	v_fma_f16 v40, v22, s7, -v55
	v_pk_add_f16 v12, v12, v13
	v_add_f16_e32 v60, v63, v60
	v_mul_f16_sdwa v63, v24, s17 dst_sel:DWORD dst_unused:UNUSED_PAD src0_sel:WORD_1 src1_sel:DWORD
	v_add_f16_e32 v39, v40, v39
	v_fma_f16 v40, v23, s13, -v56
	v_pk_add_f16 v10, v12, v10
	v_fma_f16 v64, v29, s16, v63
	v_add_f16_e32 v39, v40, v39
	v_fma_f16 v40, v24, s11, -v57
	v_pk_add_f16 v10, v10, v11
	v_add_f16_e32 v60, v64, v60
	v_mul_f16_sdwa v64, v25, s11 dst_sel:DWORD dst_unused:UNUSED_PAD src0_sel:WORD_1 src1_sel:DWORD
	v_add_f16_e32 v39, v40, v39
	v_fma_f16 v40, v25, s10, -v58
	v_pk_add_f16 v8, v10, v8
	v_fma_f16 v65, v30, s19, v64
	v_add_f16_e32 v39, v40, v39
	v_fma_f16 v40, v26, s1, v59
	v_pk_add_f16 v8, v8, v9
	v_add_f16_e32 v60, v65, v60
	v_mul_f16_sdwa v65, v26, s1 dst_sel:DWORD dst_unused:UNUSED_PAD src0_sel:WORD_1 src1_sel:DWORD
	v_add_f16_sdwa v40, v20, v40 dst_sel:DWORD dst_unused:UNUSED_PAD src0_sel:WORD_1 src1_sel:DWORD
	v_fma_f16 v41, v27, s14, v61
	v_pk_mul_f16 v26, v26, s19 op_sel_hi:[1,0]
	v_pk_add_f16 v6, v8, v6
	v_fma_f16 v66, v21, s13, v65
	v_mul_f16_sdwa v67, v27, s14 dst_sel:DWORD dst_unused:UNUSED_PAD src0_sel:WORD_1 src1_sel:DWORD
	v_add_f16_e32 v40, v41, v40
	v_fma_f16 v41, v28, s20, v62
	v_pk_mul_f16 v27, v27, s1 op_sel_hi:[1,0]
	v_pk_add_f16 v6, v6, v7
	v_pk_fma_f16 v7, v21, s11, v26 op_sel:[0,0,1] op_sel_hi:[1,0,0]
	v_pk_fma_f16 v8, v21, s11, v26 op_sel:[0,0,1] op_sel_hi:[1,0,0] neg_lo:[0,0,1] neg_hi:[0,0,1]
	v_add_f16_e32 v66, v20, v66
	v_fma_f16 v68, v22, s10, v67
	v_add_f16_e32 v40, v41, v40
	v_fma_f16 v41, v29, s21, v63
	v_bfi_b32 v9, s0, v7, v8
	v_pk_fma_f16 v10, v22, s13, v27 op_sel:[0,0,1] op_sel_hi:[1,0,0]
	v_pk_fma_f16 v11, v22, s13, v27 op_sel:[0,0,1] op_sel_hi:[1,0,0] neg_lo:[0,0,1] neg_hi:[0,0,1]
	v_add_f16_e32 v66, v68, v66
	v_mul_f16_sdwa v68, v28, s20 dst_sel:DWORD dst_unused:UNUSED_PAD src0_sel:WORD_1 src1_sel:DWORD
	v_add_f16_e32 v40, v41, v40
	v_fma_f16 v41, v30, s15, v64
	v_pk_mul_f16 v28, v28, s16 op_sel_hi:[1,0]
	v_pk_add_f16 v9, v20, v9
	v_bfi_b32 v12, s0, v10, v11
	v_fma_f16 v69, v23, s7, v68
	v_add_f16_e32 v40, v41, v40
	v_fma_f16 v41, v21, s13, -v65
	v_pk_add_f16 v9, v12, v9
	v_pk_fma_f16 v12, v23, s17, v28 op_sel:[0,0,1] op_sel_hi:[1,0,0]
	v_pk_fma_f16 v13, v23, s17, v28 op_sel:[0,0,1] op_sel_hi:[1,0,0] neg_lo:[0,0,1] neg_hi:[0,0,1]
	v_add_f16_e32 v66, v69, v66
	v_mul_f16_sdwa v69, v29, s21 dst_sel:DWORD dst_unused:UNUSED_PAD src0_sel:WORD_1 src1_sel:DWORD
	v_add_f16_e32 v41, v20, v41
	v_fma_f16 v42, v22, s10, -v67
	v_pk_mul_f16 v29, v29, s14 op_sel_hi:[1,0]
	v_bfi_b32 v14, s0, v12, v13
	v_fma_f16 v70, v24, s17, v69
	v_add_f16_e32 v41, v42, v41
	v_fma_f16 v42, v23, s7, -v68
	v_pk_add_f16 v9, v14, v9
	v_pk_fma_f16 v14, v24, s10, v29 op_sel:[0,0,1] op_sel_hi:[1,0,0]
	v_pk_fma_f16 v21, v24, s10, v29 op_sel:[0,0,1] op_sel_hi:[1,0,0] neg_lo:[0,0,1] neg_hi:[0,0,1]
	v_add_f16_e32 v66, v70, v66
	v_mul_f16_sdwa v70, v30, s15 dst_sel:DWORD dst_unused:UNUSED_PAD src0_sel:WORD_1 src1_sel:DWORD
	v_add_f16_e32 v41, v42, v41
	v_fma_f16 v42, v24, s17, -v69
	v_pk_mul_f16 v30, v30, s12 op_sel_hi:[1,0]
	v_bfi_b32 v22, s0, v14, v21
	v_add_f16_e32 v41, v42, v41
	v_fma_f16 v42, v25, s11, -v70
	v_pk_add_f16 v9, v22, v9
	v_pk_fma_f16 v22, v25, s7, v30 op_sel:[0,0,1] op_sel_hi:[1,0,0]
	v_pk_fma_f16 v23, v25, s7, v30 op_sel:[0,0,1] op_sel_hi:[1,0,0] neg_lo:[0,0,1] neg_hi:[0,0,1]
	v_fma_f16 v71, v25, s11, v70
	v_add_f16_e32 v41, v42, v41
	v_mul_u32_u24_e32 v42, 40, v0
	v_bfi_b32 v24, s0, v22, v23
	v_add_f16_e32 v66, v71, v66
	v_add3_u32 v4, v4, v42, v18
	v_pk_add_f16 v9, v24, v9
	ds_write2_b32 v4, v6, v9 offset1:1
	v_pack_b32_f16 v6, v54, v48
	v_pack_b32_f16 v9, v66, v60
	ds_write2_b32 v4, v9, v6 offset0:2 offset1:3
	v_pk_add_f16 v6, v20, v31
	v_pk_add_f16 v6, v32, v6
	v_pk_add_f16 v6, v33, v6
	v_pk_add_f16 v6, v34, v6
	v_pk_add_f16 v6, v35, v6
	v_pack_b32_f16 v9, v43, v37
	ds_write2_b32 v4, v9, v6 offset0:4 offset1:5
	v_pack_b32_f16 v6, v15, v36
	v_perm_b32 v9, v19, v5, s6
	ds_write2_b32 v4, v9, v6 offset0:6 offset1:7
	v_pack_b32_f16 v6, v41, v40
	v_pack_b32_f16 v9, v39, v38
	ds_write2_b32 v4, v9, v6 offset0:8 offset1:9
	v_bfi_b32 v6, s0, v8, v7
	v_pk_add_f16 v6, v20, v6
	v_bfi_b32 v7, s0, v11, v10
	v_pk_add_f16 v6, v7, v6
	v_bfi_b32 v7, s0, v13, v12
	v_pk_add_f16 v6, v7, v6
	v_bfi_b32 v7, s0, v21, v14
	v_pk_add_f16 v6, v7, v6
	v_bfi_b32 v7, s0, v23, v22
	v_pk_add_f16 v6, v7, v6
	ds_write_b32 v4, v6 offset:40
.LBB0_18:
	s_or_b64 exec, exec, s[4:5]
	s_movk_i32 s0, 0x75
	v_mul_lo_u16_sdwa v4, v0, s0 dst_sel:DWORD dst_unused:UNUSED_PAD src0_sel:BYTE_0 src1_sel:DWORD
	v_sub_u16_sdwa v6, v0, v4 dst_sel:DWORD dst_unused:UNUSED_PAD src0_sel:DWORD src1_sel:BYTE_1
	v_lshrrev_b16_e32 v6, 1, v6
	v_and_b32_e32 v6, 0x7f, v6
	v_add_u16_sdwa v4, v6, v4 dst_sel:DWORD dst_unused:UNUSED_PAD src0_sel:DWORD src1_sel:BYTE_1
	v_lshrrev_b16_e32 v22, 3, v4
	v_mul_lo_u16_e32 v4, 11, v22
	v_sub_u16_e32 v23, v0, v4
	v_mov_b32_e32 v4, 5
	v_mul_u32_u24_sdwa v4, v23, v4 dst_sel:DWORD dst_unused:UNUSED_PAD src0_sel:BYTE_0 src1_sel:DWORD
	v_lshlrev_b32_e32 v4, 2, v4
	s_waitcnt lgkmcnt(0)
	s_barrier
	global_load_dwordx4 v[6:9], v4, s[8:9]
	global_load_dword v14, v4, s[8:9] offset:16
	v_add_u32_e32 v21, 0x200, v1
	ds_read2_b32 v[10:11], v1 offset0:77 offset1:154
	ds_read_b32 v4, v17
	ds_read_b32 v15, v1 offset:1540
	ds_read2_b32 v[12:13], v21 offset0:103 offset1:180
	s_mov_b32 s0, 0xbaee
	s_movk_i32 s1, 0x3aee
	s_waitcnt lgkmcnt(3)
	v_lshrrev_b32_e32 v24, 16, v10
	v_lshrrev_b32_e32 v25, 16, v11
	s_waitcnt lgkmcnt(1)
	v_lshrrev_b32_e32 v26, 16, v15
	s_waitcnt lgkmcnt(0)
	v_lshrrev_b32_e32 v27, 16, v12
	v_lshrrev_b32_e32 v28, 16, v13
	;; [unrolled: 1-line block ×3, first 2 shown]
	s_waitcnt vmcnt(0)
	s_barrier
	v_mul_f16_sdwa v29, v6, v24 dst_sel:DWORD dst_unused:UNUSED_PAD src0_sel:WORD_1 src1_sel:DWORD
	v_mul_f16_sdwa v30, v6, v10 dst_sel:DWORD dst_unused:UNUSED_PAD src0_sel:WORD_1 src1_sel:DWORD
	v_mul_f16_sdwa v31, v7, v25 dst_sel:DWORD dst_unused:UNUSED_PAD src0_sel:WORD_1 src1_sel:DWORD
	v_mul_f16_sdwa v33, v8, v27 dst_sel:DWORD dst_unused:UNUSED_PAD src0_sel:WORD_1 src1_sel:DWORD
	v_mul_f16_sdwa v34, v8, v12 dst_sel:DWORD dst_unused:UNUSED_PAD src0_sel:WORD_1 src1_sel:DWORD
	v_mul_f16_sdwa v35, v9, v28 dst_sel:DWORD dst_unused:UNUSED_PAD src0_sel:WORD_1 src1_sel:DWORD
	v_mul_f16_sdwa v37, v14, v26 dst_sel:DWORD dst_unused:UNUSED_PAD src0_sel:WORD_1 src1_sel:DWORD
	v_mul_f16_sdwa v38, v14, v15 dst_sel:DWORD dst_unused:UNUSED_PAD src0_sel:WORD_1 src1_sel:DWORD
	v_mul_f16_sdwa v32, v7, v11 dst_sel:DWORD dst_unused:UNUSED_PAD src0_sel:WORD_1 src1_sel:DWORD
	v_mul_f16_sdwa v36, v9, v13 dst_sel:DWORD dst_unused:UNUSED_PAD src0_sel:WORD_1 src1_sel:DWORD
	v_fma_f16 v10, v6, v10, v29
	v_fma_f16 v6, v6, v24, -v30
	v_fma_f16 v11, v7, v11, v31
	v_fma_f16 v12, v8, v12, v33
	v_fma_f16 v8, v8, v27, -v34
	v_fma_f16 v13, v9, v13, v35
	v_fma_f16 v15, v14, v15, v37
	v_fma_f16 v14, v14, v26, -v38
	v_fma_f16 v7, v7, v25, -v32
	;; [unrolled: 1-line block ×3, first 2 shown]
	v_add_f16_e32 v25, v11, v13
	v_sub_f16_e32 v30, v8, v14
	v_add_f16_e32 v31, v6, v8
	v_add_f16_e32 v8, v8, v14
	;; [unrolled: 1-line block ×3, first 2 shown]
	v_sub_f16_e32 v26, v7, v9
	v_add_f16_e32 v27, v20, v7
	v_add_f16_e32 v7, v7, v9
	;; [unrolled: 1-line block ×4, first 2 shown]
	v_sub_f16_e32 v12, v12, v15
	v_fma_f16 v4, v25, -0.5, v4
	v_fma_f16 v6, v8, -0.5, v6
	v_sub_f16_e32 v11, v11, v13
	v_add_f16_e32 v9, v27, v9
	v_fma_f16 v7, v7, -0.5, v20
	v_fma_f16 v10, v29, -0.5, v10
	v_add_f16_e32 v14, v31, v14
	v_fma_f16 v20, v26, s0, v4
	v_fma_f16 v4, v26, s1, v4
	;; [unrolled: 1-line block ×3, first 2 shown]
	v_add_f16_e32 v13, v24, v13
	v_add_f16_e32 v15, v28, v15
	v_fma_f16 v24, v11, s1, v7
	v_fma_f16 v25, v11, s0, v7
	;; [unrolled: 1-line block ×4, first 2 shown]
	v_add_f16_e32 v11, v9, v14
	v_sub_f16_e32 v12, v9, v14
	v_mul_f16_e32 v14, 0.5, v26
	v_fma_f16 v8, v30, s1, v10
	v_add_f16_e32 v10, v13, v15
	v_sub_f16_e32 v6, v13, v15
	v_mul_f16_e32 v9, 0xbaee, v26
	v_mul_f16_e32 v15, -0.5, v27
	v_fma_f16 v28, v7, s1, v14
	v_mul_f16_e32 v13, 0xbaee, v27
	v_fma_f16 v26, v7, 0.5, v9
	v_fma_f16 v29, v8, s1, v15
	v_add_f16_e32 v14, v24, v28
	v_sub_f16_e32 v15, v24, v28
	s_movk_i32 s0, 0x108
	v_mov_b32_e32 v24, 2
	v_fma_f16 v27, v8, -0.5, v13
	v_add_f16_e32 v8, v20, v26
	v_mad_u32_u24 v22, v22, s0, 0
	v_lshlrev_b32_sdwa v23, v24, v23 dst_sel:DWORD dst_unused:UNUSED_PAD src0_sel:DWORD src1_sel:BYTE_0
	v_add_f16_e32 v9, v4, v27
	v_add_f16_e32 v13, v25, v29
	v_add3_u32 v18, v22, v23, v18
	v_pack_b32_f16 v22, v10, v11
	v_pack_b32_f16 v23, v8, v14
	v_sub_f16_e32 v7, v20, v26
	v_sub_f16_e32 v4, v4, v27
	;; [unrolled: 1-line block ×3, first 2 shown]
	ds_write2_b32 v18, v22, v23 offset1:11
	v_pack_b32_f16 v22, v9, v13
	v_pack_b32_f16 v23, v6, v12
	s_movk_i32 s0, 0x42
	ds_write2_b32 v18, v22, v23 offset0:22 offset1:33
	v_pack_b32_f16 v22, v7, v15
	v_pack_b32_f16 v23, v4, v20
	v_cmp_gt_u32_e64 s[0:1], s0, v0
	ds_write2_b32 v18, v22, v23 offset0:44 offset1:55
	s_waitcnt lgkmcnt(0)
	s_barrier
	s_and_saveexec_b64 s[4:5], s[0:1]
	s_cbranch_execz .LBB0_20
; %bb.19:
	v_add_u32_e32 v4, 0x400, v1
	ds_read_b32 v10, v17
	ds_read2_b32 v[8:9], v1 offset0:66 offset1:132
	ds_read2_b32 v[6:7], v21 offset0:70 offset1:136
	;; [unrolled: 1-line block ×3, first 2 shown]
	s_waitcnt lgkmcnt(3)
	v_lshrrev_b32_e32 v11, 16, v10
	s_waitcnt lgkmcnt(2)
	v_lshrrev_b32_e32 v14, 16, v8
	v_lshrrev_b32_e32 v13, 16, v9
	s_waitcnt lgkmcnt(1)
	v_lshrrev_b32_e32 v12, 16, v6
	;; [unrolled: 3-line block ×3, first 2 shown]
	v_lshrrev_b32_e32 v19, 16, v5
.LBB0_20:
	s_or_b64 exec, exec, s[4:5]
	s_barrier
	s_and_saveexec_b64 s[4:5], s[0:1]
	s_cbranch_execz .LBB0_22
; %bb.21:
	v_add_u32_e32 v18, 0xffffffbe, v0
	v_cndmask_b32_e64 v18, v18, v0, s[0:1]
	v_mul_i32_i24_e32 v21, 6, v18
	v_mov_b32_e32 v22, 0
	v_lshlrev_b64 v[21:22], 2, v[21:22]
	v_mov_b32_e32 v18, s9
	v_add_co_u32_e64 v25, s[0:1], s8, v21
	v_addc_co_u32_e64 v26, s[0:1], v18, v22, s[0:1]
	global_load_dwordx4 v[21:24], v[25:26], off offset:220
	global_load_dwordx2 v[27:28], v[25:26], off offset:236
	s_mov_b32 s0, 0xb574
	s_movk_i32 s6, 0x2b26
	s_mov_b32 s7, 0xbcab
	s_mov_b32 s8, 0xbb00
	s_movk_i32 s9, 0x3574
	s_mov_b32 s1, 0xb70e
	s_waitcnt vmcnt(1)
	v_mul_f16_sdwa v18, v14, v21 dst_sel:DWORD dst_unused:UNUSED_PAD src0_sel:DWORD src1_sel:WORD_1
	s_waitcnt vmcnt(0)
	v_mul_f16_sdwa v25, v19, v28 dst_sel:DWORD dst_unused:UNUSED_PAD src0_sel:DWORD src1_sel:WORD_1
	v_mul_f16_sdwa v26, v15, v24 dst_sel:DWORD dst_unused:UNUSED_PAD src0_sel:DWORD src1_sel:WORD_1
	;; [unrolled: 1-line block ×11, first 2 shown]
	v_fma_f16 v8, v8, v21, v18
	v_fma_f16 v5, v5, v28, v25
	v_fma_f16 v7, v7, v24, v26
	v_fma_f16 v6, v6, v23, v29
	v_fma_f16 v9, v9, v22, v30
	v_fma_f16 v4, v4, v27, v31
	v_fma_f16 v18, v19, v28, -v32
	v_fma_f16 v12, v12, v23, -v34
	;; [unrolled: 1-line block ×6, first 2 shown]
	v_sub_f16_e32 v20, v8, v5
	v_sub_f16_e32 v21, v7, v6
	;; [unrolled: 1-line block ×3, first 2 shown]
	v_add_f16_e32 v5, v8, v5
	v_add_f16_e32 v4, v9, v4
	v_sub_f16_e32 v8, v15, v12
	v_sub_f16_e32 v9, v13, v19
	v_add_f16_e32 v23, v14, v18
	v_add_f16_e32 v24, v12, v15
	;; [unrolled: 1-line block ×4, first 2 shown]
	v_sub_f16_e32 v7, v14, v18
	v_sub_f16_e32 v13, v21, v22
	;; [unrolled: 1-line block ×4, first 2 shown]
	v_add_f16_e32 v14, v21, v22
	v_sub_f16_e32 v15, v23, v24
	v_sub_f16_e32 v18, v24, v25
	v_add_f16_e32 v19, v25, v23
	v_sub_f16_e32 v21, v5, v6
	v_add_f16_e32 v27, v4, v5
	;; [unrolled: 2-line block ×3, first 2 shown]
	v_sub_f16_e32 v23, v25, v23
	v_mul_f16_e32 v13, 0x3846, v13
	v_mul_f16_e32 v25, 0x3846, v29
	v_sub_f16_e32 v26, v6, v4
	v_sub_f16_e32 v22, v22, v20
	v_mul_f16_e32 v15, 0x3a52, v15
	v_add_f16_e32 v19, v24, v19
	v_mul_f16_e32 v21, 0x3a52, v21
	v_add_f16_e32 v6, v6, v27
	v_add_f16_e32 v8, v8, v7
	v_fma_f16 v29, v12, s0, v13
	v_fma_f16 v30, v28, s0, v25
	s_mov_b32 s0, 0xb9e0
	v_sub_f16_e32 v4, v4, v5
	v_sub_f16_e32 v7, v9, v7
	v_add_f16_e32 v14, v14, v20
	v_mul_f16_e32 v20, 0x2b26, v18
	v_mul_f16_e32 v24, 0x2b26, v26
	;; [unrolled: 1-line block ×3, first 2 shown]
	v_fma_f16 v18, v18, s6, v15
	v_add_f16_e32 v11, v11, v19
	v_add_f16_e32 v10, v10, v6
	v_fma_f16 v15, v23, s0, -v15
	v_fma_f16 v5, v4, s0, -v21
	v_mul_f16_e32 v9, 0xbb00, v7
	s_movk_i32 s0, 0x39e0
	v_fma_f16 v26, v26, s6, v21
	v_fma_f16 v12, v12, s9, -v27
	v_fma_f16 v19, v19, s7, v11
	v_fma_f16 v6, v6, s7, v10
	v_fma_f16 v9, v28, s9, -v9
	v_fma_f16 v7, v7, s8, -v25
	;; [unrolled: 1-line block ×3, first 2 shown]
	v_fma_f16 v27, v14, s1, v29
	v_fma_f16 v29, v8, s1, v30
	;; [unrolled: 1-line block ×3, first 2 shown]
	v_add_f16_e32 v18, v18, v19
	v_add_f16_e32 v26, v26, v6
	;; [unrolled: 1-line block ×4, first 2 shown]
	v_fma_f16 v9, v8, s1, v9
	v_fma_f16 v20, v23, s0, -v20
	v_fma_f16 v13, v22, s8, -v13
	v_fma_f16 v7, v8, s1, v7
	v_add_f16_e32 v4, v4, v6
	v_add_f16_e32 v32, v12, v15
	v_sub_f16_e32 v21, v5, v9
	v_add_f16_e32 v19, v20, v19
	v_fma_f16 v13, v14, s1, v13
	v_add_f16_e32 v6, v7, v4
	v_sub_f16_e32 v4, v4, v7
	v_sub_f16_e32 v7, v15, v12
	v_add_f16_e32 v5, v9, v5
	v_sub_f16_e32 v9, v18, v27
	v_add_f16_e32 v12, v29, v26
	;; [unrolled: 2-line block ×3, first 2 shown]
	v_pack_b32_f16 v9, v12, v9
	v_pack_b32_f16 v5, v5, v7
	v_add_f16_e32 v30, v27, v18
	v_sub_f16_e32 v31, v26, v29
	ds_write2_b32 v1, v9, v5 offset0:66 offset1:132
	v_pack_b32_f16 v4, v4, v8
	v_pack_b32_f16 v5, v6, v14
	v_add_u32_e32 v6, 0x200, v1
	v_pack_b32_f16 v10, v10, v11
	ds_write2_b32 v6, v4, v5 offset0:70 offset1:136
	v_pack_b32_f16 v4, v21, v32
	v_pack_b32_f16 v5, v31, v30
	v_add_u32_e32 v1, 0x400, v1
	ds_write_b32 v17, v10
	ds_write2_b32 v1, v4, v5 offset0:74 offset1:140
.LBB0_22:
	s_or_b64 exec, exec, s[4:5]
	s_waitcnt lgkmcnt(0)
	s_barrier
	s_and_saveexec_b64 s[0:1], vcc
	s_cbranch_execz .LBB0_24
; %bb.23:
	v_lshl_add_u32 v6, v0, 2, v16
	v_mov_b32_e32 v1, 0
	ds_read2_b32 v[4:5], v6 offset1:77
	v_mov_b32_e32 v7, s3
	v_add_co_u32_e32 v8, vcc, s2, v2
	v_addc_co_u32_e32 v7, vcc, v7, v3, vcc
	v_lshlrev_b64 v[2:3], 2, v[0:1]
	v_add_co_u32_e32 v2, vcc, v8, v2
	v_addc_co_u32_e32 v3, vcc, v7, v3, vcc
	s_waitcnt lgkmcnt(0)
	global_store_dword v[2:3], v4, off
	v_add_u32_e32 v2, 0x4d, v0
	v_mov_b32_e32 v3, v1
	v_lshlrev_b64 v[2:3], 2, v[2:3]
	v_add_co_u32_e32 v2, vcc, v8, v2
	v_addc_co_u32_e32 v3, vcc, v7, v3, vcc
	global_store_dword v[2:3], v5, off
	v_add_u32_e32 v2, 0x9a, v0
	v_mov_b32_e32 v3, v1
	ds_read2_b32 v[4:5], v6 offset0:154 offset1:231
	v_lshlrev_b64 v[2:3], 2, v[2:3]
	v_add_co_u32_e32 v2, vcc, v8, v2
	v_addc_co_u32_e32 v3, vcc, v7, v3, vcc
	s_waitcnt lgkmcnt(0)
	global_store_dword v[2:3], v4, off
	v_add_u32_e32 v2, 0xe7, v0
	v_mov_b32_e32 v3, v1
	v_lshlrev_b64 v[2:3], 2, v[2:3]
	v_add_u32_e32 v4, 0x400, v6
	v_add_co_u32_e32 v2, vcc, v8, v2
	v_addc_co_u32_e32 v3, vcc, v7, v3, vcc
	global_store_dword v[2:3], v5, off
	v_add_u32_e32 v2, 0x134, v0
	v_mov_b32_e32 v3, v1
	v_lshlrev_b64 v[2:3], 2, v[2:3]
	ds_read2_b32 v[4:5], v4 offset0:52 offset1:129
	v_add_u32_e32 v0, 0x181, v0
	v_add_co_u32_e32 v2, vcc, v8, v2
	v_lshlrev_b64 v[0:1], 2, v[0:1]
	v_addc_co_u32_e32 v3, vcc, v7, v3, vcc
	v_add_co_u32_e32 v0, vcc, v8, v0
	v_addc_co_u32_e32 v1, vcc, v7, v1, vcc
	s_waitcnt lgkmcnt(0)
	global_store_dword v[2:3], v4, off
	global_store_dword v[0:1], v5, off
.LBB0_24:
	s_endpgm
	.section	.rodata,"a",@progbits
	.p2align	6, 0x0
	.amdhsa_kernel fft_rtc_back_len462_factors_11_6_7_wgs_231_tpt_77_half_ip_CI_unitstride_sbrr_C2R_dirReg
		.amdhsa_group_segment_fixed_size 0
		.amdhsa_private_segment_fixed_size 0
		.amdhsa_kernarg_size 88
		.amdhsa_user_sgpr_count 6
		.amdhsa_user_sgpr_private_segment_buffer 1
		.amdhsa_user_sgpr_dispatch_ptr 0
		.amdhsa_user_sgpr_queue_ptr 0
		.amdhsa_user_sgpr_kernarg_segment_ptr 1
		.amdhsa_user_sgpr_dispatch_id 0
		.amdhsa_user_sgpr_flat_scratch_init 0
		.amdhsa_user_sgpr_private_segment_size 0
		.amdhsa_uses_dynamic_stack 0
		.amdhsa_system_sgpr_private_segment_wavefront_offset 0
		.amdhsa_system_sgpr_workgroup_id_x 1
		.amdhsa_system_sgpr_workgroup_id_y 0
		.amdhsa_system_sgpr_workgroup_id_z 0
		.amdhsa_system_sgpr_workgroup_info 0
		.amdhsa_system_vgpr_workitem_id 0
		.amdhsa_next_free_vgpr 72
		.amdhsa_next_free_sgpr 23
		.amdhsa_reserve_vcc 1
		.amdhsa_reserve_flat_scratch 0
		.amdhsa_float_round_mode_32 0
		.amdhsa_float_round_mode_16_64 0
		.amdhsa_float_denorm_mode_32 3
		.amdhsa_float_denorm_mode_16_64 3
		.amdhsa_dx10_clamp 1
		.amdhsa_ieee_mode 1
		.amdhsa_fp16_overflow 0
		.amdhsa_exception_fp_ieee_invalid_op 0
		.amdhsa_exception_fp_denorm_src 0
		.amdhsa_exception_fp_ieee_div_zero 0
		.amdhsa_exception_fp_ieee_overflow 0
		.amdhsa_exception_fp_ieee_underflow 0
		.amdhsa_exception_fp_ieee_inexact 0
		.amdhsa_exception_int_div_zero 0
	.end_amdhsa_kernel
	.text
.Lfunc_end0:
	.size	fft_rtc_back_len462_factors_11_6_7_wgs_231_tpt_77_half_ip_CI_unitstride_sbrr_C2R_dirReg, .Lfunc_end0-fft_rtc_back_len462_factors_11_6_7_wgs_231_tpt_77_half_ip_CI_unitstride_sbrr_C2R_dirReg
                                        ; -- End function
	.section	.AMDGPU.csdata,"",@progbits
; Kernel info:
; codeLenInByte = 6076
; NumSgprs: 27
; NumVgprs: 72
; ScratchSize: 0
; MemoryBound: 0
; FloatMode: 240
; IeeeMode: 1
; LDSByteSize: 0 bytes/workgroup (compile time only)
; SGPRBlocks: 3
; VGPRBlocks: 17
; NumSGPRsForWavesPerEU: 27
; NumVGPRsForWavesPerEU: 72
; Occupancy: 3
; WaveLimiterHint : 1
; COMPUTE_PGM_RSRC2:SCRATCH_EN: 0
; COMPUTE_PGM_RSRC2:USER_SGPR: 6
; COMPUTE_PGM_RSRC2:TRAP_HANDLER: 0
; COMPUTE_PGM_RSRC2:TGID_X_EN: 1
; COMPUTE_PGM_RSRC2:TGID_Y_EN: 0
; COMPUTE_PGM_RSRC2:TGID_Z_EN: 0
; COMPUTE_PGM_RSRC2:TIDIG_COMP_CNT: 0
	.type	__hip_cuid_4816f3d9d1c9d222,@object ; @__hip_cuid_4816f3d9d1c9d222
	.section	.bss,"aw",@nobits
	.globl	__hip_cuid_4816f3d9d1c9d222
__hip_cuid_4816f3d9d1c9d222:
	.byte	0                               ; 0x0
	.size	__hip_cuid_4816f3d9d1c9d222, 1

	.ident	"AMD clang version 19.0.0git (https://github.com/RadeonOpenCompute/llvm-project roc-6.4.0 25133 c7fe45cf4b819c5991fe208aaa96edf142730f1d)"
	.section	".note.GNU-stack","",@progbits
	.addrsig
	.addrsig_sym __hip_cuid_4816f3d9d1c9d222
	.amdgpu_metadata
---
amdhsa.kernels:
  - .args:
      - .actual_access:  read_only
        .address_space:  global
        .offset:         0
        .size:           8
        .value_kind:     global_buffer
      - .offset:         8
        .size:           8
        .value_kind:     by_value
      - .actual_access:  read_only
        .address_space:  global
        .offset:         16
        .size:           8
        .value_kind:     global_buffer
      - .actual_access:  read_only
        .address_space:  global
        .offset:         24
        .size:           8
        .value_kind:     global_buffer
      - .offset:         32
        .size:           8
        .value_kind:     by_value
      - .actual_access:  read_only
        .address_space:  global
        .offset:         40
        .size:           8
        .value_kind:     global_buffer
      - .actual_access:  read_only
        .address_space:  global
        .offset:         48
        .size:           8
        .value_kind:     global_buffer
      - .offset:         56
        .size:           4
        .value_kind:     by_value
      - .actual_access:  read_only
        .address_space:  global
        .offset:         64
        .size:           8
        .value_kind:     global_buffer
      - .actual_access:  read_only
        .address_space:  global
        .offset:         72
        .size:           8
        .value_kind:     global_buffer
      - .address_space:  global
        .offset:         80
        .size:           8
        .value_kind:     global_buffer
    .group_segment_fixed_size: 0
    .kernarg_segment_align: 8
    .kernarg_segment_size: 88
    .language:       OpenCL C
    .language_version:
      - 2
      - 0
    .max_flat_workgroup_size: 231
    .name:           fft_rtc_back_len462_factors_11_6_7_wgs_231_tpt_77_half_ip_CI_unitstride_sbrr_C2R_dirReg
    .private_segment_fixed_size: 0
    .sgpr_count:     27
    .sgpr_spill_count: 0
    .symbol:         fft_rtc_back_len462_factors_11_6_7_wgs_231_tpt_77_half_ip_CI_unitstride_sbrr_C2R_dirReg.kd
    .uniform_work_group_size: 1
    .uses_dynamic_stack: false
    .vgpr_count:     72
    .vgpr_spill_count: 0
    .wavefront_size: 64
amdhsa.target:   amdgcn-amd-amdhsa--gfx906
amdhsa.version:
  - 1
  - 2
...

	.end_amdgpu_metadata
